;; amdgpu-corpus repo=ROCm/rocFFT kind=compiled arch=gfx1030 opt=O3
	.text
	.amdgcn_target "amdgcn-amd-amdhsa--gfx1030"
	.amdhsa_code_object_version 6
	.protected	fft_rtc_back_len216_factors_6_6_6_wgs_324_tpt_36_half_op_CI_CI_sbcc_twdbase5_3step_dirReg ; -- Begin function fft_rtc_back_len216_factors_6_6_6_wgs_324_tpt_36_half_op_CI_CI_sbcc_twdbase5_3step_dirReg
	.globl	fft_rtc_back_len216_factors_6_6_6_wgs_324_tpt_36_half_op_CI_CI_sbcc_twdbase5_3step_dirReg
	.p2align	8
	.type	fft_rtc_back_len216_factors_6_6_6_wgs_324_tpt_36_half_op_CI_CI_sbcc_twdbase5_3step_dirReg,@function
fft_rtc_back_len216_factors_6_6_6_wgs_324_tpt_36_half_op_CI_CI_sbcc_twdbase5_3step_dirReg: ; @fft_rtc_back_len216_factors_6_6_6_wgs_324_tpt_36_half_op_CI_CI_sbcc_twdbase5_3step_dirReg
; %bb.0:
	s_clause 0x1
	s_load_dwordx8 s[8:15], s[4:5], 0x8
	s_load_dwordx2 s[26:27], s[4:5], 0x28
	s_mov_b32 s0, exec_lo
	v_cmpx_gt_u32_e32 0x60, v0
	s_cbranch_execz .LBB0_2
; %bb.1:
	v_lshlrev_b32_e32 v1, 2, v0
	s_waitcnt lgkmcnt(0)
	global_load_dword v2, v1, s[8:9]
	v_add_nc_u32_e32 v1, 0, v1
	s_waitcnt vmcnt(0)
	ds_write_b32 v1, v2 offset:7776
.LBB0_2:
	s_or_b32 exec_lo, exec_lo, s0
	s_waitcnt lgkmcnt(0)
	s_load_dwordx2 s[28:29], s[12:13], 0x8
	s_mov_b64 s[24:25], 0
	s_waitcnt lgkmcnt(0)
	s_add_u32 s0, s28, -1
	s_addc_u32 s1, s29, -1
	s_add_u32 s2, 0, 0x71c4fc00
	s_addc_u32 s3, 0, 0x7c
	s_mul_hi_u32 s8, s2, -9
	s_add_i32 s3, s3, 0x1c71c6a0
	s_sub_i32 s8, s8, s2
	s_mul_i32 s16, s3, -9
	s_mul_i32 s7, s2, -9
	s_add_i32 s8, s8, s16
	s_mul_hi_u32 s9, s2, s7
	s_mul_i32 s18, s2, s8
	s_mul_hi_u32 s16, s2, s8
	s_mul_hi_u32 s17, s3, s7
	s_mul_i32 s7, s3, s7
	s_add_u32 s9, s9, s18
	s_addc_u32 s16, 0, s16
	s_mul_hi_u32 s19, s3, s8
	s_add_u32 s7, s9, s7
	s_mul_i32 s8, s3, s8
	s_addc_u32 s7, s16, s17
	s_addc_u32 s9, s19, 0
	s_add_u32 s7, s7, s8
	v_add_co_u32 v1, s2, s2, s7
	s_addc_u32 s7, 0, s9
	s_cmp_lg_u32 s2, 0
	s_addc_u32 s2, s3, s7
	v_readfirstlane_b32 s3, v1
	s_mul_i32 s8, s0, s2
	s_mul_hi_u32 s7, s0, s2
	s_mul_hi_u32 s9, s1, s2
	s_mul_i32 s2, s1, s2
	s_mul_hi_u32 s16, s0, s3
	s_mul_hi_u32 s17, s1, s3
	s_mul_i32 s3, s1, s3
	s_add_u32 s8, s16, s8
	s_addc_u32 s7, 0, s7
	s_add_u32 s3, s8, s3
	s_addc_u32 s3, s7, s17
	s_addc_u32 s7, s9, 0
	s_add_u32 s2, s3, s2
	s_addc_u32 s3, 0, s7
	s_mul_i32 s8, s2, 9
	s_add_u32 s7, s2, 1
	v_sub_co_u32 v1, s0, s0, s8
	s_mul_hi_u32 s8, s2, 9
	s_addc_u32 s9, s3, 0
	s_mul_i32 s16, s3, 9
	v_sub_co_u32 v2, s17, v1, 9
	s_add_u32 s18, s2, 2
	s_addc_u32 s19, s3, 0
	s_add_i32 s8, s8, s16
	s_cmp_lg_u32 s0, 0
	v_readfirstlane_b32 s0, v2
	s_subb_u32 s1, s1, s8
	s_cmp_lg_u32 s17, 0
	s_subb_u32 s8, s1, 0
	s_cmp_gt_u32 s0, 8
	s_cselect_b32 s0, -1, 0
	s_cmp_eq_u32 s8, 0
	v_readfirstlane_b32 s8, v1
	s_cselect_b32 s0, s0, -1
	s_cmp_lg_u32 s0, 0
	s_cselect_b32 s0, s18, s7
	s_cselect_b32 s9, s19, s9
	s_cmp_gt_u32 s8, 8
	s_cselect_b32 s7, -1, 0
	s_cmp_eq_u32 s1, 0
	s_cselect_b32 s1, s7, -1
	s_mov_b32 s7, 0
	s_cmp_lg_u32 s1, 0
	s_cselect_b32 s0, s0, s2
	s_cselect_b32 s1, s9, s3
	s_add_u32 s34, s0, 1
	s_addc_u32 s35, s1, 0
	v_cmp_lt_u64_e64 s0, s[6:7], s[34:35]
	s_and_b32 vcc_lo, exec_lo, s0
	s_cbranch_vccnz .LBB0_4
; %bb.3:
	v_cvt_f32_u32_e32 v1, s34
	s_sub_i32 s1, 0, s34
	s_mov_b32 s25, s7
	v_rcp_iflag_f32_e32 v1, v1
	v_mul_f32_e32 v1, 0x4f7ffffe, v1
	v_cvt_u32_f32_e32 v1, v1
	v_readfirstlane_b32 s0, v1
	s_mul_i32 s1, s1, s0
	s_mul_hi_u32 s1, s0, s1
	s_add_i32 s0, s0, s1
	s_mul_hi_u32 s0, s6, s0
	s_mul_i32 s1, s0, s34
	s_add_i32 s2, s0, 1
	s_sub_i32 s1, s6, s1
	s_sub_i32 s3, s1, s34
	s_cmp_ge_u32 s1, s34
	s_cselect_b32 s0, s2, s0
	s_cselect_b32 s1, s3, s1
	s_add_i32 s2, s0, 1
	s_cmp_ge_u32 s1, s34
	s_cselect_b32 s24, s2, s0
.LBB0_4:
	s_load_dwordx4 s[20:23], s[14:15], 0x0
	s_load_dwordx4 s[0:3], s[26:27], 0x0
	s_clause 0x1
	s_load_dwordx4 s[16:19], s[4:5], 0x60
	s_load_dwordx2 s[8:9], s[4:5], 0x0
	s_mul_i32 s4, s24, s35
	s_mul_hi_u32 s5, s24, s34
	s_mul_i32 s30, s24, s34
	s_add_i32 s5, s5, s4
	s_sub_u32 s48, s6, s30
	s_subb_u32 s4, 0, s5
	s_mul_hi_u32 s33, s48, 9
	s_mul_i32 s4, s4, 9
	v_cmp_lt_u64_e64 s36, s[10:11], 3
	s_add_i32 s33, s33, s4
	s_mul_i32 s48, s48, 9
	s_and_b32 vcc_lo, exec_lo, s36
	s_waitcnt lgkmcnt(0)
	s_mul_i32 s4, s22, s33
	s_mul_hi_u32 s5, s22, s48
	s_mul_i32 s37, s2, s33
	s_mul_hi_u32 s38, s2, s48
	s_mul_i32 s31, s23, s48
	s_mul_i32 s39, s3, s48
	s_add_i32 s4, s5, s4
	s_add_i32 s5, s38, s37
	s_mul_i32 s30, s22, s48
	s_add_i32 s31, s4, s31
	s_add_i32 s5, s5, s39
	s_mul_i32 s4, s2, s48
	s_cbranch_vccnz .LBB0_14
; %bb.5:
	s_add_u32 s36, s26, 16
	s_addc_u32 s37, s27, 0
	s_add_u32 s38, s14, 16
	s_addc_u32 s39, s15, 0
	;; [unrolled: 2-line block ×3, first 2 shown]
	s_mov_b64 s[40:41], 2
	s_mov_b32 s42, 0
.LBB0_6:                                ; =>This Inner Loop Header: Depth=1
	s_load_dwordx2 s[44:45], s[12:13], 0x0
	s_waitcnt lgkmcnt(0)
	s_or_b64 s[46:47], s[24:25], s[44:45]
	s_mov_b32 s43, s47
                                        ; implicit-def: $sgpr46_sgpr47
	s_cmp_lg_u64 s[42:43], 0
	s_mov_b32 s43, -1
	s_cbranch_scc0 .LBB0_8
; %bb.7:                                ;   in Loop: Header=BB0_6 Depth=1
	v_cvt_f32_u32_e32 v1, s44
	v_cvt_f32_u32_e32 v2, s45
	s_sub_u32 s47, 0, s44
	s_subb_u32 s49, 0, s45
	v_fmac_f32_e32 v1, 0x4f800000, v2
	v_rcp_f32_e32 v1, v1
	v_mul_f32_e32 v1, 0x5f7ffffc, v1
	v_mul_f32_e32 v2, 0x2f800000, v1
	v_trunc_f32_e32 v2, v2
	v_fmac_f32_e32 v1, 0xcf800000, v2
	v_cvt_u32_f32_e32 v2, v2
	v_cvt_u32_f32_e32 v1, v1
	v_readfirstlane_b32 s43, v2
	v_readfirstlane_b32 s46, v1
	s_mul_i32 s50, s47, s43
	s_mul_hi_u32 s52, s47, s46
	s_mul_i32 s51, s49, s46
	s_add_i32 s50, s52, s50
	s_mul_i32 s53, s47, s46
	s_add_i32 s50, s50, s51
	s_mul_hi_u32 s52, s46, s53
	s_mul_hi_u32 s54, s43, s53
	s_mul_i32 s51, s43, s53
	s_mul_hi_u32 s53, s46, s50
	s_mul_i32 s46, s46, s50
	s_mul_hi_u32 s55, s43, s50
	s_add_u32 s46, s52, s46
	s_addc_u32 s52, 0, s53
	s_add_u32 s46, s46, s51
	s_mul_i32 s50, s43, s50
	s_addc_u32 s46, s52, s54
	s_addc_u32 s51, s55, 0
	s_add_u32 s46, s46, s50
	s_addc_u32 s50, 0, s51
	v_add_co_u32 v1, s46, v1, s46
	s_cmp_lg_u32 s46, 0
	s_addc_u32 s43, s43, s50
	v_readfirstlane_b32 s46, v1
	s_mul_i32 s50, s47, s43
	s_mul_hi_u32 s51, s47, s46
	s_mul_i32 s49, s49, s46
	s_add_i32 s50, s51, s50
	s_mul_i32 s47, s47, s46
	s_add_i32 s50, s50, s49
	s_mul_hi_u32 s51, s43, s47
	s_mul_i32 s52, s43, s47
	s_mul_hi_u32 s47, s46, s47
	s_mul_hi_u32 s53, s46, s50
	s_mul_i32 s46, s46, s50
	s_mul_hi_u32 s49, s43, s50
	s_add_u32 s46, s47, s46
	s_addc_u32 s47, 0, s53
	s_add_u32 s46, s46, s52
	s_mul_i32 s50, s43, s50
	s_addc_u32 s46, s47, s51
	s_addc_u32 s47, s49, 0
	s_add_u32 s46, s46, s50
	s_addc_u32 s47, 0, s47
	v_add_co_u32 v1, s46, v1, s46
	s_cmp_lg_u32 s46, 0
	s_addc_u32 s43, s43, s47
	v_readfirstlane_b32 s46, v1
	s_mul_i32 s49, s24, s43
	s_mul_hi_u32 s47, s24, s43
	s_mul_hi_u32 s50, s25, s43
	s_mul_i32 s43, s25, s43
	s_mul_hi_u32 s51, s24, s46
	s_mul_hi_u32 s52, s25, s46
	s_mul_i32 s46, s25, s46
	s_add_u32 s49, s51, s49
	s_addc_u32 s47, 0, s47
	s_add_u32 s46, s49, s46
	s_addc_u32 s46, s47, s52
	s_addc_u32 s47, s50, 0
	s_add_u32 s46, s46, s43
	s_addc_u32 s47, 0, s47
	s_mul_hi_u32 s43, s44, s46
	s_mul_i32 s50, s44, s47
	s_mul_i32 s51, s44, s46
	s_add_i32 s43, s43, s50
	v_sub_co_u32 v1, s50, s24, s51
	s_mul_i32 s49, s45, s46
	s_add_i32 s43, s43, s49
	v_sub_co_u32 v2, s51, v1, s44
	s_sub_i32 s49, s25, s43
	s_cmp_lg_u32 s50, 0
	s_subb_u32 s49, s49, s45
	s_cmp_lg_u32 s51, 0
	v_readfirstlane_b32 s51, v2
	s_subb_u32 s49, s49, 0
	s_cmp_ge_u32 s49, s45
	s_cselect_b32 s52, -1, 0
	s_cmp_ge_u32 s51, s44
	s_cselect_b32 s51, -1, 0
	s_cmp_eq_u32 s49, s45
	s_cselect_b32 s49, s51, s52
	s_add_u32 s51, s46, 1
	s_addc_u32 s52, s47, 0
	s_add_u32 s53, s46, 2
	s_addc_u32 s54, s47, 0
	s_cmp_lg_u32 s49, 0
	s_cselect_b32 s49, s53, s51
	s_cselect_b32 s51, s54, s52
	s_cmp_lg_u32 s50, 0
	v_readfirstlane_b32 s50, v1
	s_subb_u32 s43, s25, s43
	s_cmp_ge_u32 s43, s45
	s_cselect_b32 s52, -1, 0
	s_cmp_ge_u32 s50, s44
	s_cselect_b32 s50, -1, 0
	s_cmp_eq_u32 s43, s45
	s_cselect_b32 s43, s50, s52
	s_cmp_lg_u32 s43, 0
	s_mov_b32 s43, 0
	s_cselect_b32 s47, s51, s47
	s_cselect_b32 s46, s49, s46
.LBB0_8:                                ;   in Loop: Header=BB0_6 Depth=1
	s_andn2_b32 vcc_lo, exec_lo, s43
	s_cbranch_vccnz .LBB0_10
; %bb.9:                                ;   in Loop: Header=BB0_6 Depth=1
	v_cvt_f32_u32_e32 v1, s44
	s_sub_i32 s46, 0, s44
	v_rcp_iflag_f32_e32 v1, v1
	v_mul_f32_e32 v1, 0x4f7ffffe, v1
	v_cvt_u32_f32_e32 v1, v1
	v_readfirstlane_b32 s43, v1
	s_mul_i32 s46, s46, s43
	s_mul_hi_u32 s46, s43, s46
	s_add_i32 s43, s43, s46
	s_mul_hi_u32 s43, s24, s43
	s_mul_i32 s46, s43, s44
	s_add_i32 s47, s43, 1
	s_sub_i32 s46, s24, s46
	s_sub_i32 s49, s46, s44
	s_cmp_ge_u32 s46, s44
	s_cselect_b32 s43, s47, s43
	s_cselect_b32 s46, s49, s46
	s_add_i32 s47, s43, 1
	s_cmp_ge_u32 s46, s44
	s_cselect_b32 s46, s47, s43
	s_mov_b32 s47, s42
.LBB0_10:                               ;   in Loop: Header=BB0_6 Depth=1
	s_load_dwordx2 s[50:51], s[38:39], 0x0
	s_load_dwordx2 s[52:53], s[36:37], 0x0
	s_mul_i32 s35, s44, s35
	s_mul_hi_u32 s43, s44, s34
	s_mul_i32 s49, s45, s34
	s_mul_i32 s45, s46, s45
	s_mul_hi_u32 s54, s46, s44
	s_mul_i32 s55, s47, s44
	s_add_i32 s35, s43, s35
	s_add_i32 s43, s54, s45
	s_mul_i32 s56, s46, s44
	s_add_i32 s35, s35, s49
	s_add_i32 s43, s43, s55
	s_sub_u32 s24, s24, s56
	s_subb_u32 s25, s25, s43
	s_mul_i32 s34, s44, s34
	s_waitcnt lgkmcnt(0)
	s_mul_i32 s43, s50, s25
	s_mul_hi_u32 s45, s50, s24
	s_mul_i32 s49, s51, s24
	s_add_i32 s43, s45, s43
	s_mul_i32 s50, s50, s24
	s_mul_i32 s25, s52, s25
	s_mul_hi_u32 s45, s52, s24
	s_add_i32 s43, s43, s49
	s_add_u32 s30, s50, s30
	s_addc_u32 s31, s43, s31
	s_add_i32 s25, s45, s25
	s_mul_i32 s43, s53, s24
	s_mul_i32 s24, s52, s24
	s_add_i32 s25, s25, s43
	s_add_u32 s4, s24, s4
	s_addc_u32 s5, s25, s5
	s_add_u32 s40, s40, 1
	s_addc_u32 s41, s41, 0
	s_add_u32 s36, s36, 8
	v_cmp_ge_u64_e64 s24, s[40:41], s[10:11]
	s_addc_u32 s37, s37, 0
	s_add_u32 s38, s38, 8
	s_addc_u32 s39, s39, 0
	s_add_u32 s12, s12, 8
	s_addc_u32 s13, s13, 0
	s_and_b32 vcc_lo, exec_lo, s24
	s_cbranch_vccnz .LBB0_12
; %bb.11:                               ;   in Loop: Header=BB0_6 Depth=1
	s_mov_b64 s[24:25], s[46:47]
	s_branch .LBB0_6
.LBB0_12:
	v_cmp_lt_u64_e64 s7, s[6:7], s[34:35]
	s_mov_b64 s[24:25], 0
	s_and_b32 vcc_lo, exec_lo, s7
	s_cbranch_vccnz .LBB0_14
; %bb.13:
	v_cvt_f32_u32_e32 v1, s34
	s_sub_i32 s12, 0, s34
	v_rcp_iflag_f32_e32 v1, v1
	v_mul_f32_e32 v1, 0x4f7ffffe, v1
	v_cvt_u32_f32_e32 v1, v1
	v_readfirstlane_b32 s7, v1
	s_mul_i32 s12, s12, s7
	s_mul_hi_u32 s12, s7, s12
	s_add_i32 s7, s7, s12
	s_mul_hi_u32 s7, s6, s7
	s_mul_i32 s12, s7, s34
	s_sub_i32 s6, s6, s12
	s_add_i32 s12, s7, 1
	s_sub_i32 s13, s6, s34
	s_cmp_ge_u32 s6, s34
	s_cselect_b32 s7, s12, s7
	s_cselect_b32 s6, s13, s6
	s_add_i32 s12, s7, 1
	s_cmp_ge_u32 s6, s34
	s_cselect_b32 s24, s12, s7
.LBB0_14:
	v_mul_hi_u32 v1, 0x1c71c71d, v0
	s_lshl_b64 s[10:11], s[10:11], 3
                                        ; implicit-def: $vgpr9
                                        ; implicit-def: $vgpr8
                                        ; implicit-def: $vgpr3
                                        ; implicit-def: $vgpr4
	s_add_u32 s6, s26, s10
	s_addc_u32 s7, s27, s11
	v_mul_u32_u24_e32 v2, 9, v1
	v_sub_nc_u32_e32 v7, v0, v2
                                        ; implicit-def: $vgpr2
	v_add_co_u32 v5, s12, s48, v7
	v_add_co_ci_u32_e64 v6, null, s33, 0, s12
	s_add_u32 s12, s48, 9
	s_addc_u32 s13, s33, 0
	v_cmp_le_u64_e64 s12, s[12:13], s[28:29]
	v_cmp_gt_u64_e32 vcc_lo, s[28:29], v[5:6]
                                        ; implicit-def: $vgpr6
	s_or_b32 s12, s12, vcc_lo
	s_and_saveexec_b32 s13, s12
	s_cbranch_execz .LBB0_16
; %bb.15:
	s_add_u32 s10, s14, s10
	s_addc_u32 s11, s15, s11
	v_mad_u64_u32 v[8:9], null, s20, v1, 0
	s_load_dwordx2 s[10:11], s[10:11], 0x0
	v_mad_u64_u32 v[2:3], null, s22, v7, 0
	v_add_nc_u32_e32 v6, 36, v1
	v_add_nc_u32_e32 v17, 0x48, v1
	;; [unrolled: 1-line block ×3, first 2 shown]
	v_mov_b32_e32 v4, v9
	v_add_nc_u32_e32 v23, 0xb4, v1
	v_mad_u64_u32 v[10:11], null, s20, v6, 0
	v_mad_u64_u32 v[12:13], null, s20, v17, 0
	;; [unrolled: 1-line block ×4, first 2 shown]
	v_mov_b32_e32 v4, v11
	v_mov_b32_e32 v3, v14
	s_waitcnt lgkmcnt(0)
	s_mul_i32 s11, s11, s24
	s_mul_hi_u32 s14, s10, s24
	s_mul_i32 s10, s10, s24
	s_add_i32 s11, s14, s11
	v_lshlrev_b64 v[2:3], 2, v[2:3]
	s_lshl_b64 s[10:11], s[10:11], 2
	v_mov_b32_e32 v9, v15
	s_add_u32 s14, s16, s10
	s_addc_u32 s15, s17, s11
	s_lshl_b64 s[10:11], s[30:31], 2
	v_mad_u64_u32 v[14:15], null, s21, v6, v[4:5]
	s_add_u32 s10, s14, s10
	s_addc_u32 s11, s15, s11
	v_mad_u64_u32 v[15:16], null, s20, v19, 0
	v_add_co_u32 v6, vcc_lo, s10, v2
	v_add_co_ci_u32_e32 v22, vcc_lo, s11, v3, vcc_lo
	v_lshlrev_b64 v[3:4], 2, v[8:9]
	v_mov_b32_e32 v2, v13
	v_mov_b32_e32 v11, v14
	v_add_nc_u32_e32 v14, 0x90, v1
	v_mad_u64_u32 v[8:9], null, s21, v17, v[2:3]
	v_mov_b32_e32 v2, v16
	v_mad_u64_u32 v[17:18], null, s20, v14, 0
	v_lshlrev_b64 v[9:10], 2, v[10:11]
	v_mad_u64_u32 v[19:20], null, s21, v19, v[2:3]
	v_mad_u64_u32 v[20:21], null, s20, v23, 0
	v_add_co_u32 v2, vcc_lo, v6, v3
	v_add_co_ci_u32_e32 v3, vcc_lo, v22, v4, vcc_lo
	v_mov_b32_e32 v4, v18
	v_mov_b32_e32 v13, v8
	;; [unrolled: 1-line block ×3, first 2 shown]
	v_add_co_u32 v8, vcc_lo, v6, v9
	v_mad_u64_u32 v[18:19], null, s21, v14, v[4:5]
	v_mov_b32_e32 v4, v21
	v_add_co_ci_u32_e32 v9, vcc_lo, v22, v10, vcc_lo
	v_lshlrev_b64 v[10:11], 2, v[12:13]
	v_mad_u64_u32 v[12:13], null, s21, v23, v[4:5]
	v_lshlrev_b64 v[13:14], 2, v[15:16]
	v_lshlrev_b64 v[15:16], 2, v[17:18]
	v_add_co_u32 v10, vcc_lo, v6, v10
	v_add_co_ci_u32_e32 v11, vcc_lo, v22, v11, vcc_lo
	v_mov_b32_e32 v21, v12
	v_add_co_u32 v12, vcc_lo, v6, v13
	v_add_co_ci_u32_e32 v13, vcc_lo, v22, v14, vcc_lo
	v_lshlrev_b64 v[17:18], 2, v[20:21]
	v_add_co_u32 v14, vcc_lo, v6, v15
	v_add_co_ci_u32_e32 v15, vcc_lo, v22, v16, vcc_lo
	v_add_co_u32 v16, vcc_lo, v6, v17
	v_add_co_ci_u32_e32 v17, vcc_lo, v22, v18, vcc_lo
	s_clause 0x5
	global_load_dword v4, v[2:3], off
	global_load_dword v8, v[8:9], off
	;; [unrolled: 1-line block ×6, first 2 shown]
.LBB0_16:
	s_or_b32 exec_lo, exec_lo, s13
	s_waitcnt vmcnt(0)
	v_add_f16_sdwa v10, v2, v9 dst_sel:DWORD dst_unused:UNUSED_PAD src0_sel:WORD_1 src1_sel:WORD_1
	v_lshrrev_b32_e32 v11, 16, v8
	v_add_f16_e32 v12, v2, v9
	v_sub_f16_sdwa v13, v9, v2 dst_sel:DWORD dst_unused:UNUSED_PAD src0_sel:WORD_1 src1_sel:WORD_1
	v_sub_f16_e32 v14, v9, v2
	v_pk_add_f16 v16, v3, v6
	v_fmac_f16_e32 v11, -0.5, v10
	v_fma_f16 v10, -0.5, v12, v8
	v_pk_add_f16 v8, v9, v8
	v_pk_add_f16 v12, v6, v4
	v_pk_add_f16 v6, v6, v3 neg_lo:[0,1] neg_hi:[0,1]
	v_fmamk_f16 v9, v14, 0x3aee, v11
	v_fmamk_f16 v15, v13, 0xbaee, v10
	v_pk_add_f16 v2, v2, v8
	v_mul_hi_u32 v8, 0x2aaaaaab, v1
	v_pk_fma_f16 v4, v16, -0.5, v4 op_sel_hi:[1,0,1]
	v_mul_f16_e32 v18, 0xbaee, v9
	v_mul_f16_e32 v19, 0x3aee, v15
	v_fmac_f16_e32 v11, 0xbaee, v14
	v_pk_mul_f16 v6, 0x3aee, v6 op_sel_hi:[0,1]
	v_fmac_f16_e32 v10, 0x3aee, v13
	v_fmac_f16_e32 v18, 0.5, v15
	v_fmac_f16_e32 v19, 0.5, v9
	v_pk_add_f16 v3, v3, v12
	v_pk_add_f16 v9, v4, v6 op_sel:[0,1] op_sel_hi:[1,0] neg_lo:[0,1] neg_hi:[0,1]
	v_pk_add_f16 v4, v6, v4 op_sel:[1,0] op_sel_hi:[0,1]
	v_pk_mul_f16 v11, 0xb800baee, v11 op_sel_hi:[1,0]
	v_mul_u32_u24_e32 v8, 6, v8
	v_mul_u32_u24_e32 v17, 0xd8, v1
	v_lshlrev_b32_e32 v14, 2, v7
	v_pk_add_f16 v12, v2, v3
	v_pk_add_f16 v2, v3, v2 neg_lo:[0,1] neg_hi:[0,1]
	v_bfi_b32 v3, 0xffff, v4, v9
	v_add_f16_e32 v13, v9, v18
	v_pk_fma_f16 v10, 0x3aeeb800, v10, v11 op_sel_hi:[1,0,1]
	v_add_f16_sdwa v11, v4, v19 dst_sel:DWORD dst_unused:UNUSED_PAD src0_sel:WORD_1 src1_sel:DWORD
	v_sub_nc_u32_e32 v15, v1, v8
	v_add3_u32 v6, 0, v17, v14
	v_sub_f16_e32 v9, v9, v18
	v_sub_f16_sdwa v4, v4, v19 dst_sel:DWORD dst_unused:UNUSED_PAD src0_sel:WORD_1 src1_sel:DWORD
	v_pk_add_f16 v8, v3, v10
	v_pack_b32_f16 v11, v13, v11
	v_pk_add_f16 v3, v3, v10 neg_lo:[0,1] neg_hi:[0,1]
	v_mul_u32_u24_e32 v10, 5, v15
	v_pack_b32_f16 v4, v9, v4
	s_load_dwordx2 s[6:7], s[6:7], 0x0
	ds_write2_b32 v6, v12, v11 offset1:9
	ds_write2_b32 v6, v8, v2 offset0:18 offset1:27
	v_mad_i32_i24 v13, 0xffffff4c, v1, v6
	v_lshlrev_b32_e32 v2, 2, v10
	ds_write2_b32 v6, v4, v3 offset0:36 offset1:45
	s_waitcnt lgkmcnt(0)
	s_barrier
	buffer_gl0_inv
	s_clause 0x1
	global_load_dwordx4 v[8:11], v2, s[8:9]
	global_load_dword v2, v2, s[8:9] offset:16
	v_mul_hi_u32 v3, 0x4bda130, v0
	v_mad_u32_u24 v3, v3, 36, v15
	ds_read_b32 v4, v13
	ds_read_b32 v6, v13 offset:1296
	ds_read_b32 v12, v13 offset:2592
	;; [unrolled: 1-line block ×5, first 2 shown]
	s_waitcnt vmcnt(0) lgkmcnt(0)
	s_barrier
	buffer_gl0_inv
	v_mul_i32_i24_e32 v3, 36, v3
	v_add3_u32 v3, 0, v3, v14
	v_add_nc_u32_e32 v14, 0x200, v3
	v_lshrrev_b32_e32 v18, 16, v4
	v_lshrrev_b32_e32 v19, 16, v6
	;; [unrolled: 1-line block ×6, first 2 shown]
	v_mul_f16_sdwa v24, v8, v19 dst_sel:DWORD dst_unused:UNUSED_PAD src0_sel:WORD_1 src1_sel:DWORD
	v_mul_f16_sdwa v25, v8, v6 dst_sel:DWORD dst_unused:UNUSED_PAD src0_sel:WORD_1 src1_sel:DWORD
	v_mul_f16_sdwa v26, v9, v20 dst_sel:DWORD dst_unused:UNUSED_PAD src0_sel:WORD_1 src1_sel:DWORD
	v_mul_f16_sdwa v27, v9, v12 dst_sel:DWORD dst_unused:UNUSED_PAD src0_sel:WORD_1 src1_sel:DWORD
	v_mul_f16_sdwa v29, v10, v15 dst_sel:DWORD dst_unused:UNUSED_PAD src0_sel:WORD_1 src1_sel:DWORD
	v_mul_f16_sdwa v32, v2, v23 dst_sel:DWORD dst_unused:UNUSED_PAD src0_sel:WORD_1 src1_sel:DWORD
	v_mul_f16_sdwa v33, v2, v17 dst_sel:DWORD dst_unused:UNUSED_PAD src0_sel:WORD_1 src1_sel:DWORD
	v_mul_f16_sdwa v28, v10, v21 dst_sel:DWORD dst_unused:UNUSED_PAD src0_sel:WORD_1 src1_sel:DWORD
	v_mul_f16_sdwa v30, v11, v22 dst_sel:DWORD dst_unused:UNUSED_PAD src0_sel:WORD_1 src1_sel:DWORD
	v_mul_f16_sdwa v31, v11, v16 dst_sel:DWORD dst_unused:UNUSED_PAD src0_sel:WORD_1 src1_sel:DWORD
	v_fmac_f16_e32 v24, v8, v6
	v_fma_f16 v6, v8, v19, -v25
	v_fmac_f16_e32 v26, v9, v12
	v_fma_f16 v8, v9, v20, -v27
	v_fma_f16 v9, v10, v21, -v29
	v_fmac_f16_e32 v32, v2, v17
	v_fma_f16 v2, v2, v23, -v33
	v_fmac_f16_e32 v28, v10, v15
	v_fmac_f16_e32 v30, v11, v16
	v_fma_f16 v10, v11, v22, -v31
	v_add_f16_e32 v22, v6, v9
	v_sub_f16_e32 v21, v9, v2
	v_add_f16_e32 v9, v9, v2
	v_add_f16_e32 v11, v4, v26
	v_add_f16_e32 v12, v26, v30
	v_sub_f16_e32 v15, v8, v10
	v_add_f16_e32 v16, v18, v8
	v_add_f16_e32 v8, v8, v10
	;; [unrolled: 1-line block ×4, first 2 shown]
	v_sub_f16_e32 v23, v28, v32
	v_fmac_f16_e32 v6, -0.5, v9
	v_sub_f16_e32 v17, v26, v30
	v_add_f16_e32 v11, v11, v30
	v_fmac_f16_e32 v4, -0.5, v12
	v_add_f16_e32 v10, v16, v10
	v_fmac_f16_e32 v18, -0.5, v8
	;; [unrolled: 2-line block ×3, first 2 shown]
	v_fmamk_f16 v16, v23, 0x3aee, v6
	v_fmac_f16_e32 v6, 0xbaee, v23
	v_add_f16_e32 v2, v22, v2
	v_fmamk_f16 v9, v15, 0xbaee, v4
	v_fmac_f16_e32 v4, 0x3aee, v15
	v_fmamk_f16 v12, v17, 0x3aee, v18
	v_fmac_f16_e32 v18, 0xbaee, v17
	v_fmamk_f16 v15, v21, 0xbaee, v24
	v_add_f16_e32 v17, v11, v8
	v_sub_f16_e32 v8, v11, v8
	v_mul_f16_e32 v11, 0xbaee, v16
	v_mul_f16_e32 v16, 0.5, v16
	v_fmac_f16_e32 v24, 0x3aee, v21
	v_mul_f16_e32 v20, 0xbaee, v6
	v_mul_f16_e32 v6, -0.5, v6
	v_add_f16_e32 v19, v10, v2
	v_fmac_f16_e32 v11, 0.5, v15
	v_fmac_f16_e32 v16, 0x3aee, v15
	v_fmac_f16_e32 v20, -0.5, v24
	v_fmac_f16_e32 v6, 0x3aee, v24
	v_sub_f16_e32 v2, v10, v2
	v_pack_b32_f16 v10, v17, v19
	v_add_f16_e32 v15, v9, v11
	v_add_f16_e32 v19, v12, v16
	;; [unrolled: 1-line block ×4, first 2 shown]
	v_sub_f16_e32 v9, v9, v11
	v_sub_f16_e32 v4, v4, v20
	;; [unrolled: 1-line block ×4, first 2 shown]
	v_pack_b32_f16 v2, v8, v2
	v_pack_b32_f16 v8, v15, v19
	;; [unrolled: 1-line block ×5, first 2 shown]
	ds_write2_b32 v3, v10, v8 offset1:54
	ds_write2_b32 v3, v12, v2 offset0:108 offset1:162
	ds_write2_b32 v14, v9, v4 offset0:88 offset1:142
	s_waitcnt lgkmcnt(0)
	s_barrier
	buffer_gl0_inv
	s_and_saveexec_b32 s10, s12
	s_cbranch_execz .LBB0_18
; %bb.17:
	v_mul_hi_u32 v2, 0x71c71c8, v1
	v_mad_u64_u32 v[14:15], null, s2, v7, 0
	v_mul_hi_u32_u24_e32 v0, 0xca4588, v0
	s_mul_i32 s7, s7, s24
	v_mul_lo_u32 v33, 0xffffffdc, v5
	s_add_i32 s2, 0, 0x1e60
	v_mul_u32_u24_e32 v2, 36, v2
	v_mad_u64_u32 v[15:16], null, s3, v7, v[15:16]
	v_sub_nc_u32_e32 v17, v1, v2
	v_lshlrev_b64 v[14:15], 2, v[14:15]
	v_mul_u32_u24_e32 v1, 5, v17
	v_add_nc_u32_e32 v7, 0xb4, v17
	v_mad_u32_u24 v28, 0xd8, v0, v17
	v_mul_lo_u32 v18, v17, v5
	v_lshlrev_b32_e32 v6, 2, v1
	v_mul_lo_u32 v0, v7, v5
	v_mad_u64_u32 v[16:17], null, s0, v28, 0
	v_add_nc_u32_e32 v29, 36, v28
	s_clause 0x1
	global_load_dwordx4 v[1:4], v6, s[8:9] offset:120
	global_load_dword v8, v6, s[8:9] offset:136
	s_mul_hi_u32 s8, s6, s24
	v_add_nc_u32_e32 v30, 0x48, v28
	s_mul_i32 s6, s6, s24
	s_add_i32 s7, s8, s7
	v_add_nc_u32_e32 v31, 0x6c, v28
	v_add_nc_u32_e32 v32, 0x90, v28
	ds_read_b32 v6, v13
	ds_read_b32 v9, v13 offset:6480
	ds_read_b32 v11, v13 offset:5184
	ds_read_b32 v10, v13 offset:3888
	ds_read_b32 v12, v13 offset:2592
	ds_read_b32 v13, v13 offset:1296
	s_lshl_b64 s[6:7], s[6:7], 2
	v_add_nc_u32_e32 v40, 0xb4, v28
	v_lshrrev_b32_e32 v5, 8, v18
	v_and_b32_e32 v7, 31, v18
	v_lshrrev_b32_e32 v41, 3, v18
	v_mad_u64_u32 v[18:19], null, s0, v29, 0
	s_add_u32 s6, s18, s6
	v_mad_u64_u32 v[20:21], null, s0, v30, 0
	s_addc_u32 s7, s19, s7
	s_lshl_b64 s[4:5], s[4:5], 2
	v_mad_u64_u32 v[22:23], null, s0, v31, 0
	v_mad_u64_u32 v[24:25], null, s0, v32, 0
	v_lshrrev_b32_e32 v42, 8, v0
	v_and_b32_e32 v43, 31, v0
	v_lshrrev_b32_e32 v44, 3, v0
	v_add_nc_u32_e32 v45, v0, v33
	v_mov_b32_e32 v0, v17
	s_add_u32 s4, s6, s4
	v_mad_u64_u32 v[26:27], null, s0, v40, 0
	v_and_b32_e32 v5, 0x7c, v5
	v_lshl_add_u32 v46, v7, 2, 0
	v_and_b32_e32 v7, 0x7c, v41
	s_addc_u32 s5, s7, s5
	v_add_co_u32 v41, vcc_lo, s4, v14
	v_add_co_ci_u32_e32 v47, vcc_lo, s5, v15, vcc_lo
	v_add_nc_u32_e32 v51, s2, v5
	v_mov_b32_e32 v5, v21
	v_add_nc_u32_e32 v52, s2, v7
	v_mov_b32_e32 v7, v23
	v_lshrrev_b32_e32 v48, 8, v45
	v_mov_b32_e32 v17, v27
	v_and_b32_e32 v49, 31, v45
	v_lshrrev_b32_e32 v50, 3, v45
	v_add_nc_u32_e32 v45, v45, v33
	v_and_b32_e32 v42, 0x7c, v42
	v_and_b32_e32 v44, 0x7c, v44
	v_lshl_add_u32 v43, v43, 2, 0
	v_and_b32_e32 v21, 0x7c, v50
	v_lshrrev_b32_e32 v23, 8, v45
	v_add_nc_u32_e32 v42, s2, v42
	v_add_nc_u32_e32 v44, s2, v44
	s_waitcnt lgkmcnt(1)
	v_lshrrev_b32_e32 v35, 16, v12
	v_lshrrev_b32_e32 v36, 16, v11
	;; [unrolled: 1-line block ×4, first 2 shown]
	s_waitcnt lgkmcnt(0)
	v_lshrrev_b32_e32 v39, 16, v13
	v_lshrrev_b32_e32 v34, 16, v6
	s_waitcnt vmcnt(1)
	v_mad_u64_u32 v[14:15], null, s1, v28, v[0:1]
	v_mov_b32_e32 v0, v19
	v_mov_b32_e32 v15, v25
	v_and_b32_e32 v19, 0x7c, v48
	v_add_nc_u32_e32 v25, v45, v33
	v_lshl_add_u32 v48, v49, 2, 0
	v_mad_u64_u32 v[27:28], null, s1, v29, v[0:1]
	v_mad_u64_u32 v[28:29], null, s1, v30, v[5:6]
	s_waitcnt vmcnt(0)
	v_mad_u64_u32 v[29:30], null, s1, v31, v[7:8]
	v_mad_u64_u32 v[30:31], null, s1, v32, v[15:16]
	v_mad_u64_u32 v[31:32], null, s1, v40, v[17:18]
	v_mov_b32_e32 v17, v14
	v_and_b32_e32 v0, 31, v45
	v_lshrrev_b32_e32 v5, 3, v45
	ds_read_b32 v45, v46 offset:7776
	ds_read_b32 v46, v52 offset:128
	v_add_nc_u32_e32 v7, s2, v19
	v_mov_b32_e32 v19, v27
	v_and_b32_e32 v40, 0x7c, v23
	v_lshlrev_b64 v[14:15], 2, v[16:17]
	v_add_nc_u32_e32 v32, s2, v21
	v_lshrrev_b32_e32 v49, 8, v25
	v_and_b32_e32 v50, 31, v25
	v_lshrrev_b32_e32 v52, 3, v25
	v_add_nc_u32_e32 v33, v25, v33
	v_mov_b32_e32 v21, v28
	v_mov_b32_e32 v23, v29
	;; [unrolled: 1-line block ×4, first 2 shown]
	v_lshlrev_b64 v[16:17], 2, v[18:19]
	v_lshl_add_u32 v0, v0, 2, 0
	v_add_nc_u32_e32 v28, s2, v40
	v_and_b32_e32 v5, 0x7c, v5
	v_lshlrev_b64 v[18:19], 2, v[20:21]
	v_lshlrev_b64 v[20:21], 2, v[22:23]
	;; [unrolled: 1-line block ×4, first 2 shown]
	v_add_co_u32 v14, vcc_lo, v41, v14
	ds_read_b32 v26, v42 offset:256
	ds_read_b32 v27, v43 offset:7776
	ds_read_b32 v42, v44 offset:128
	ds_read_b32 v7, v7 offset:256
	ds_read_b32 v43, v48 offset:7776
	ds_read_b32 v32, v32 offset:128
	ds_read_b32 v28, v28 offset:256
	ds_read_b32 v0, v0 offset:7776
	v_add_co_ci_u32_e32 v15, vcc_lo, v47, v15, vcc_lo
	v_add_co_u32 v16, vcc_lo, v41, v16
	v_add_nc_u32_e32 v5, s2, v5
	v_lshrrev_b32_e32 v40, 8, v33
	v_add_co_ci_u32_e32 v17, vcc_lo, v47, v17, vcc_lo
	v_and_b32_e32 v29, 0x7c, v49
	v_and_b32_e32 v49, 31, v33
	v_lshrrev_b32_e32 v33, 3, v33
	v_add_co_u32 v18, vcc_lo, v41, v18
	v_add_co_ci_u32_e32 v19, vcc_lo, v47, v19, vcc_lo
	v_and_b32_e32 v31, 0x7c, v52
	v_add_co_u32 v20, vcc_lo, v41, v20
	v_and_b32_e32 v40, 0x7c, v40
	s_waitcnt lgkmcnt(9)
	v_lshrrev_b32_e32 v48, 16, v45
	ds_read_b32 v5, v5 offset:128
	v_and_b32_e32 v33, 0x7c, v33
	v_add_co_ci_u32_e32 v21, vcc_lo, v47, v21, vcc_lo
	v_add_nc_u32_e32 v29, s2, v29
	v_add_co_u32 v22, vcc_lo, v41, v22
	v_lshl_add_u32 v30, v50, 2, 0
	v_add_nc_u32_e32 v31, s2, v31
	v_add_co_ci_u32_e32 v23, vcc_lo, v47, v23, vcc_lo
	v_lshl_add_u32 v44, v49, 2, 0
	v_add_co_u32 v24, vcc_lo, v41, v24
	v_add_nc_u32_e32 v40, s2, v40
	s_waitcnt lgkmcnt(9)
	v_mul_f16_sdwa v41, v48, v46 dst_sel:DWORD dst_unused:UNUSED_PAD src0_sel:DWORD src1_sel:WORD_1
	s_waitcnt lgkmcnt(7)
	v_lshrrev_b32_e32 v49, 16, v27
	s_waitcnt lgkmcnt(6)
	v_mul_f16_sdwa v50, v27, v42 dst_sel:DWORD dst_unused:UNUSED_PAD src0_sel:DWORD src1_sel:WORD_1
	v_add_nc_u32_e32 v33, s2, v33
	ds_read_b32 v29, v29 offset:256
	ds_read_b32 v30, v30 offset:7776
	;; [unrolled: 1-line block ×7, first 2 shown]
	v_add_co_ci_u32_e32 v25, vcc_lo, v47, v25, vcc_lo
	v_mul_f16_sdwa v47, v45, v46 dst_sel:DWORD dst_unused:UNUSED_PAD src0_sel:DWORD src1_sel:WORD_1
	v_fma_f16 v41, v45, v46, -v41
	v_mul_f16_sdwa v45, v49, v42 dst_sel:DWORD dst_unused:UNUSED_PAD src0_sel:DWORD src1_sel:WORD_1
	v_fmac_f16_e32 v50, v49, v42
	s_waitcnt lgkmcnt(11)
	v_lshrrev_b32_e32 v49, 16, v43
	s_waitcnt lgkmcnt(10)
	v_mul_f16_sdwa v52, v43, v32 dst_sel:DWORD dst_unused:UNUSED_PAD src0_sel:DWORD src1_sel:WORD_1
	v_fmac_f16_e32 v47, v48, v46
	v_fma_f16 v27, v27, v42, -v45
	v_mul_f16_sdwa v42, v50, v26 dst_sel:DWORD dst_unused:UNUSED_PAD src0_sel:DWORD src1_sel:WORD_1
	v_mul_f16_sdwa v45, v49, v32 dst_sel:DWORD dst_unused:UNUSED_PAD src0_sel:DWORD src1_sel:WORD_1
	v_fmac_f16_e32 v52, v49, v32
	s_waitcnt lgkmcnt(8)
	v_lshrrev_b32_e32 v46, 16, v0
	s_waitcnt lgkmcnt(7)
	v_mul_f16_sdwa v48, v0, v5 dst_sel:DWORD dst_unused:UNUSED_PAD src0_sel:DWORD src1_sel:WORD_1
	v_fma_f16 v42, v26, v27, -v42
	v_mul_f16_sdwa v27, v27, v26 dst_sel:DWORD dst_unused:UNUSED_PAD src0_sel:DWORD src1_sel:WORD_1
	v_fma_f16 v32, v43, v32, -v45
	v_mul_f16_sdwa v43, v52, v7 dst_sel:DWORD dst_unused:UNUSED_PAD src0_sel:DWORD src1_sel:WORD_1
	v_mul_f16_sdwa v45, v46, v5 dst_sel:DWORD dst_unused:UNUSED_PAD src0_sel:DWORD src1_sel:WORD_1
	v_fmac_f16_e32 v48, v46, v5
	s_waitcnt lgkmcnt(5)
	v_lshrrev_b32_e32 v46, 16, v30
	s_waitcnt lgkmcnt(4)
	v_mul_f16_sdwa v49, v30, v31 dst_sel:DWORD dst_unused:UNUSED_PAD src0_sel:DWORD src1_sel:WORD_1
	v_fmac_f16_e32 v27, v26, v50
	v_fma_f16 v26, v7, v32, -v43
	v_mul_f16_sdwa v32, v32, v7 dst_sel:DWORD dst_unused:UNUSED_PAD src0_sel:DWORD src1_sel:WORD_1
	v_fma_f16 v0, v0, v5, -v45
	s_waitcnt lgkmcnt(2)
	v_lshrrev_b32_e32 v45, 16, v44
	v_mul_f16_sdwa v43, v46, v31 dst_sel:DWORD dst_unused:UNUSED_PAD src0_sel:DWORD src1_sel:WORD_1
	v_fmac_f16_e32 v49, v46, v31
	s_waitcnt lgkmcnt(1)
	v_mul_f16_sdwa v46, v44, v33 dst_sel:DWORD dst_unused:UNUSED_PAD src0_sel:DWORD src1_sel:WORD_1
	v_fmac_f16_e32 v32, v7, v52
	v_mul_f16_sdwa v7, v45, v33 dst_sel:DWORD dst_unused:UNUSED_PAD src0_sel:DWORD src1_sel:WORD_1
	v_mul_f16_sdwa v5, v48, v28 dst_sel:DWORD dst_unused:UNUSED_PAD src0_sel:DWORD src1_sel:WORD_1
	s_waitcnt lgkmcnt(0)
	v_mul_f16_sdwa v50, v47, v51 dst_sel:DWORD dst_unused:UNUSED_PAD src0_sel:DWORD src1_sel:WORD_1
	v_fma_f16 v30, v30, v31, -v43
	v_fmac_f16_e32 v46, v45, v33
	v_fma_f16 v7, v44, v33, -v7
	v_mul_f16_sdwa v53, v41, v51 dst_sel:DWORD dst_unused:UNUSED_PAD src0_sel:DWORD src1_sel:WORD_1
	v_fma_f16 v5, v28, v0, -v5
	v_mul_f16_sdwa v0, v0, v28 dst_sel:DWORD dst_unused:UNUSED_PAD src0_sel:DWORD src1_sel:WORD_1
	v_mul_f16_sdwa v31, v49, v29 dst_sel:DWORD dst_unused:UNUSED_PAD src0_sel:DWORD src1_sel:WORD_1
	v_fma_f16 v33, v51, v41, -v50
	v_mul_f16_sdwa v41, v30, v29 dst_sel:DWORD dst_unused:UNUSED_PAD src0_sel:DWORD src1_sel:WORD_1
	v_mul_f16_sdwa v43, v46, v40 dst_sel:DWORD dst_unused:UNUSED_PAD src0_sel:DWORD src1_sel:WORD_1
	;; [unrolled: 1-line block ×3, first 2 shown]
	v_fmac_f16_e32 v0, v28, v48
	v_fma_f16 v28, v29, v30, -v31
	v_fmac_f16_e32 v41, v29, v49
	v_fma_f16 v7, v40, v7, -v43
	v_fmac_f16_e32 v44, v40, v46
	v_mul_f16_sdwa v29, v2, v12 dst_sel:DWORD dst_unused:UNUSED_PAD src0_sel:WORD_1 src1_sel:DWORD
	v_mul_f16_sdwa v30, v4, v11 dst_sel:DWORD dst_unused:UNUSED_PAD src0_sel:WORD_1 src1_sel:DWORD
	;; [unrolled: 1-line block ×6, first 2 shown]
	v_fmac_f16_e32 v53, v51, v47
	v_mul_f16_sdwa v46, v1, v39 dst_sel:DWORD dst_unused:UNUSED_PAD src0_sel:WORD_1 src1_sel:DWORD
	v_mul_f16_sdwa v47, v3, v37 dst_sel:DWORD dst_unused:UNUSED_PAD src0_sel:WORD_1 src1_sel:DWORD
	;; [unrolled: 1-line block ×4, first 2 shown]
	v_fma_f16 v29, v2, v35, -v29
	v_fma_f16 v30, v4, v36, -v30
	v_fmac_f16_e32 v31, v2, v12
	v_fmac_f16_e32 v40, v4, v11
	v_fma_f16 v2, v3, v37, -v43
	v_fma_f16 v4, v8, v38, -v45
	v_fmac_f16_e32 v46, v1, v13
	v_fmac_f16_e32 v47, v3, v10
	;; [unrolled: 1-line block ×3, first 2 shown]
	v_fma_f16 v1, v1, v39, -v49
	v_add_f16_e32 v11, v2, v4
	v_add_f16_e32 v3, v29, v30
	v_sub_f16_e32 v8, v31, v40
	v_sub_f16_e32 v9, v2, v4
	v_add_f16_e32 v10, v47, v48
	v_sub_f16_e32 v12, v47, v48
	v_sub_f16_e32 v13, v29, v30
	v_add_f16_e32 v35, v31, v40
	v_add_f16_e32 v29, v34, v29
	;; [unrolled: 1-line block ×5, first 2 shown]
	v_fma_f16 v1, -0.5, v11, v1
	v_fma_f16 v3, -0.5, v3, v34
	;; [unrolled: 1-line block ×4, first 2 shown]
	v_add_f16_e32 v11, v29, v30
	v_add_f16_e32 v2, v2, v4
	;; [unrolled: 1-line block ×4, first 2 shown]
	v_fmamk_f16 v34, v12, 0xbaee, v1
	v_fmac_f16_e32 v1, 0x3aee, v12
	v_fmamk_f16 v30, v8, 0xbaee, v3
	v_fmamk_f16 v31, v9, 0x3aee, v10
	;; [unrolled: 1-line block ×3, first 2 shown]
	v_fmac_f16_e32 v3, 0x3aee, v8
	v_fmac_f16_e32 v10, 0xbaee, v9
	;; [unrolled: 1-line block ×3, first 2 shown]
	v_sub_f16_e32 v8, v11, v2
	v_sub_f16_e32 v9, v4, v29
	v_mul_f16_e32 v13, 0.5, v1
	v_mul_f16_e32 v1, 0xbaee, v1
	v_add_f16_e32 v2, v11, v2
	v_mul_f16_e32 v11, -0.5, v34
	v_mul_f16_e32 v12, 0xbaee, v34
	v_add_f16_e32 v4, v4, v29
	v_mul_f16_e32 v29, v9, v0
	v_mul_f16_e32 v0, v8, v0
	v_fmac_f16_e32 v13, 0x3aee, v10
	v_fmac_f16_e32 v1, 0.5, v10
	v_mul_f16_e32 v36, v2, v53
	v_fmac_f16_e32 v11, 0x3aee, v31
	v_fmac_f16_e32 v12, -0.5, v31
	v_fmac_f16_e32 v0, v9, v5
	v_sub_f16_e32 v9, v3, v13
	v_sub_f16_e32 v10, v6, v1
	v_add_f16_e32 v3, v3, v13
	v_add_f16_e32 v1, v6, v1
	v_mul_f16_e32 v34, v4, v53
	v_fma_f16 v8, v8, v5, -v29
	v_fmac_f16_e32 v36, v4, v33
	v_sub_f16_e32 v4, v30, v11
	v_sub_f16_e32 v5, v35, v12
	v_add_f16_e32 v11, v30, v11
	v_add_f16_e32 v12, v35, v12
	v_mul_f16_e32 v30, v1, v44
	v_mul_f16_e32 v31, v3, v44
	v_pack_b32_f16 v0, v0, v8
	v_mul_f16_e32 v6, v5, v27
	v_mul_f16_e32 v8, v4, v27
	;; [unrolled: 1-line block ×6, first 2 shown]
	v_fma_f16 v2, v2, v33, -v34
	v_fma_f16 v3, v3, v7, -v30
	v_fmac_f16_e32 v31, v1, v7
	v_fma_f16 v4, v4, v42, -v6
	v_fma_f16 v6, v11, v28, -v29
	v_fmac_f16_e32 v32, v12, v28
	v_fma_f16 v1, v9, v26, -v13
	v_fmac_f16_e32 v27, v10, v26
	v_pack_b32_f16 v2, v36, v2
	v_fmac_f16_e32 v8, v5, v42
	v_pack_b32_f16 v3, v31, v3
	v_pack_b32_f16 v5, v32, v6
	;; [unrolled: 1-line block ×3, first 2 shown]
	global_store_dword v[14:15], v2, off
	v_pack_b32_f16 v2, v8, v4
	global_store_dword v[16:17], v3, off
	global_store_dword v[18:19], v5, off
	;; [unrolled: 1-line block ×5, first 2 shown]
.LBB0_18:
	s_endpgm
	.section	.rodata,"a",@progbits
	.p2align	6, 0x0
	.amdhsa_kernel fft_rtc_back_len216_factors_6_6_6_wgs_324_tpt_36_half_op_CI_CI_sbcc_twdbase5_3step_dirReg
		.amdhsa_group_segment_fixed_size 0
		.amdhsa_private_segment_fixed_size 0
		.amdhsa_kernarg_size 112
		.amdhsa_user_sgpr_count 6
		.amdhsa_user_sgpr_private_segment_buffer 1
		.amdhsa_user_sgpr_dispatch_ptr 0
		.amdhsa_user_sgpr_queue_ptr 0
		.amdhsa_user_sgpr_kernarg_segment_ptr 1
		.amdhsa_user_sgpr_dispatch_id 0
		.amdhsa_user_sgpr_flat_scratch_init 0
		.amdhsa_user_sgpr_private_segment_size 0
		.amdhsa_wavefront_size32 1
		.amdhsa_uses_dynamic_stack 0
		.amdhsa_system_sgpr_private_segment_wavefront_offset 0
		.amdhsa_system_sgpr_workgroup_id_x 1
		.amdhsa_system_sgpr_workgroup_id_y 0
		.amdhsa_system_sgpr_workgroup_id_z 0
		.amdhsa_system_sgpr_workgroup_info 0
		.amdhsa_system_vgpr_workitem_id 0
		.amdhsa_next_free_vgpr 54
		.amdhsa_next_free_sgpr 57
		.amdhsa_reserve_vcc 1
		.amdhsa_reserve_flat_scratch 0
		.amdhsa_float_round_mode_32 0
		.amdhsa_float_round_mode_16_64 0
		.amdhsa_float_denorm_mode_32 3
		.amdhsa_float_denorm_mode_16_64 3
		.amdhsa_dx10_clamp 1
		.amdhsa_ieee_mode 1
		.amdhsa_fp16_overflow 0
		.amdhsa_workgroup_processor_mode 1
		.amdhsa_memory_ordered 1
		.amdhsa_forward_progress 0
		.amdhsa_shared_vgpr_count 0
		.amdhsa_exception_fp_ieee_invalid_op 0
		.amdhsa_exception_fp_denorm_src 0
		.amdhsa_exception_fp_ieee_div_zero 0
		.amdhsa_exception_fp_ieee_overflow 0
		.amdhsa_exception_fp_ieee_underflow 0
		.amdhsa_exception_fp_ieee_inexact 0
		.amdhsa_exception_int_div_zero 0
	.end_amdhsa_kernel
	.text
.Lfunc_end0:
	.size	fft_rtc_back_len216_factors_6_6_6_wgs_324_tpt_36_half_op_CI_CI_sbcc_twdbase5_3step_dirReg, .Lfunc_end0-fft_rtc_back_len216_factors_6_6_6_wgs_324_tpt_36_half_op_CI_CI_sbcc_twdbase5_3step_dirReg
                                        ; -- End function
	.section	.AMDGPU.csdata,"",@progbits
; Kernel info:
; codeLenInByte = 5204
; NumSgprs: 59
; NumVgprs: 54
; ScratchSize: 0
; MemoryBound: 0
; FloatMode: 240
; IeeeMode: 1
; LDSByteSize: 0 bytes/workgroup (compile time only)
; SGPRBlocks: 7
; VGPRBlocks: 6
; NumSGPRsForWavesPerEU: 59
; NumVGPRsForWavesPerEU: 54
; Occupancy: 14
; WaveLimiterHint : 1
; COMPUTE_PGM_RSRC2:SCRATCH_EN: 0
; COMPUTE_PGM_RSRC2:USER_SGPR: 6
; COMPUTE_PGM_RSRC2:TRAP_HANDLER: 0
; COMPUTE_PGM_RSRC2:TGID_X_EN: 1
; COMPUTE_PGM_RSRC2:TGID_Y_EN: 0
; COMPUTE_PGM_RSRC2:TGID_Z_EN: 0
; COMPUTE_PGM_RSRC2:TIDIG_COMP_CNT: 0
	.text
	.p2alignl 6, 3214868480
	.fill 48, 4, 3214868480
	.type	__hip_cuid_3cec0d1bb310337b,@object ; @__hip_cuid_3cec0d1bb310337b
	.section	.bss,"aw",@nobits
	.globl	__hip_cuid_3cec0d1bb310337b
__hip_cuid_3cec0d1bb310337b:
	.byte	0                               ; 0x0
	.size	__hip_cuid_3cec0d1bb310337b, 1

	.ident	"AMD clang version 19.0.0git (https://github.com/RadeonOpenCompute/llvm-project roc-6.4.0 25133 c7fe45cf4b819c5991fe208aaa96edf142730f1d)"
	.section	".note.GNU-stack","",@progbits
	.addrsig
	.addrsig_sym __hip_cuid_3cec0d1bb310337b
	.amdgpu_metadata
---
amdhsa.kernels:
  - .args:
      - .actual_access:  read_only
        .address_space:  global
        .offset:         0
        .size:           8
        .value_kind:     global_buffer
      - .address_space:  global
        .offset:         8
        .size:           8
        .value_kind:     global_buffer
      - .offset:         16
        .size:           8
        .value_kind:     by_value
      - .actual_access:  read_only
        .address_space:  global
        .offset:         24
        .size:           8
        .value_kind:     global_buffer
      - .actual_access:  read_only
        .address_space:  global
        .offset:         32
        .size:           8
        .value_kind:     global_buffer
      - .actual_access:  read_only
        .address_space:  global
        .offset:         40
        .size:           8
        .value_kind:     global_buffer
      - .offset:         48
        .size:           8
        .value_kind:     by_value
      - .actual_access:  read_only
        .address_space:  global
        .offset:         56
        .size:           8
        .value_kind:     global_buffer
      - .actual_access:  read_only
        .address_space:  global
        .offset:         64
        .size:           8
        .value_kind:     global_buffer
      - .offset:         72
        .size:           4
        .value_kind:     by_value
      - .actual_access:  read_only
        .address_space:  global
        .offset:         80
        .size:           8
        .value_kind:     global_buffer
      - .actual_access:  read_only
        .address_space:  global
        .offset:         88
        .size:           8
        .value_kind:     global_buffer
      - .actual_access:  read_only
        .address_space:  global
        .offset:         96
        .size:           8
        .value_kind:     global_buffer
      - .actual_access:  write_only
        .address_space:  global
        .offset:         104
        .size:           8
        .value_kind:     global_buffer
    .group_segment_fixed_size: 0
    .kernarg_segment_align: 8
    .kernarg_segment_size: 112
    .language:       OpenCL C
    .language_version:
      - 2
      - 0
    .max_flat_workgroup_size: 324
    .name:           fft_rtc_back_len216_factors_6_6_6_wgs_324_tpt_36_half_op_CI_CI_sbcc_twdbase5_3step_dirReg
    .private_segment_fixed_size: 0
    .sgpr_count:     59
    .sgpr_spill_count: 0
    .symbol:         fft_rtc_back_len216_factors_6_6_6_wgs_324_tpt_36_half_op_CI_CI_sbcc_twdbase5_3step_dirReg.kd
    .uniform_work_group_size: 1
    .uses_dynamic_stack: false
    .vgpr_count:     54
    .vgpr_spill_count: 0
    .wavefront_size: 32
    .workgroup_processor_mode: 1
amdhsa.target:   amdgcn-amd-amdhsa--gfx1030
amdhsa.version:
  - 1
  - 2
...

	.end_amdgpu_metadata
